;; amdgpu-corpus repo=ROCm/rocFFT kind=compiled arch=gfx906 opt=O3
	.text
	.amdgcn_target "amdgcn-amd-amdhsa--gfx906"
	.amdhsa_code_object_version 6
	.protected	fft_rtc_back_len1040_factors_13_16_5_wgs_208_tpt_208_halfLds_dp_op_CI_CI_unitstride_sbrr_C2R_dirReg ; -- Begin function fft_rtc_back_len1040_factors_13_16_5_wgs_208_tpt_208_halfLds_dp_op_CI_CI_unitstride_sbrr_C2R_dirReg
	.globl	fft_rtc_back_len1040_factors_13_16_5_wgs_208_tpt_208_halfLds_dp_op_CI_CI_unitstride_sbrr_C2R_dirReg
	.p2align	8
	.type	fft_rtc_back_len1040_factors_13_16_5_wgs_208_tpt_208_halfLds_dp_op_CI_CI_unitstride_sbrr_C2R_dirReg,@function
fft_rtc_back_len1040_factors_13_16_5_wgs_208_tpt_208_halfLds_dp_op_CI_CI_unitstride_sbrr_C2R_dirReg: ; @fft_rtc_back_len1040_factors_13_16_5_wgs_208_tpt_208_halfLds_dp_op_CI_CI_unitstride_sbrr_C2R_dirReg
; %bb.0:
	s_load_dwordx4 s[8:11], s[4:5], 0x58
	s_load_dwordx4 s[12:15], s[4:5], 0x0
	;; [unrolled: 1-line block ×3, first 2 shown]
	v_mul_u32_u24_e32 v1, 0x13c, v0
	v_add_u32_sdwa v5, s6, v1 dst_sel:DWORD dst_unused:UNUSED_PAD src0_sel:DWORD src1_sel:WORD_1
	v_mov_b32_e32 v3, 0
	s_waitcnt lgkmcnt(0)
	v_cmp_lt_u64_e64 s[0:1], s[14:15], 2
	v_mov_b32_e32 v1, 0
	v_mov_b32_e32 v6, v3
	s_and_b64 vcc, exec, s[0:1]
	v_mov_b32_e32 v2, 0
	s_cbranch_vccnz .LBB0_8
; %bb.1:
	s_load_dwordx2 s[0:1], s[4:5], 0x10
	s_add_u32 s2, s18, 8
	s_addc_u32 s3, s19, 0
	s_add_u32 s6, s16, 8
	v_mov_b32_e32 v1, 0
	s_addc_u32 s7, s17, 0
	v_mov_b32_e32 v2, 0
	s_waitcnt lgkmcnt(0)
	s_add_u32 s20, s0, 8
	v_mov_b32_e32 v65, v2
	s_addc_u32 s21, s1, 0
	s_mov_b64 s[22:23], 1
	v_mov_b32_e32 v64, v1
.LBB0_2:                                ; =>This Inner Loop Header: Depth=1
	s_load_dwordx2 s[24:25], s[20:21], 0x0
                                        ; implicit-def: $vgpr66_vgpr67
	s_waitcnt lgkmcnt(0)
	v_or_b32_e32 v4, s25, v6
	v_cmp_ne_u64_e32 vcc, 0, v[3:4]
	s_and_saveexec_b64 s[0:1], vcc
	s_xor_b64 s[26:27], exec, s[0:1]
	s_cbranch_execz .LBB0_4
; %bb.3:                                ;   in Loop: Header=BB0_2 Depth=1
	v_cvt_f32_u32_e32 v4, s24
	v_cvt_f32_u32_e32 v7, s25
	s_sub_u32 s0, 0, s24
	s_subb_u32 s1, 0, s25
	v_mac_f32_e32 v4, 0x4f800000, v7
	v_rcp_f32_e32 v4, v4
	v_mul_f32_e32 v4, 0x5f7ffffc, v4
	v_mul_f32_e32 v7, 0x2f800000, v4
	v_trunc_f32_e32 v7, v7
	v_mac_f32_e32 v4, 0xcf800000, v7
	v_cvt_u32_f32_e32 v7, v7
	v_cvt_u32_f32_e32 v4, v4
	v_mul_lo_u32 v8, s0, v7
	v_mul_hi_u32 v9, s0, v4
	v_mul_lo_u32 v11, s1, v4
	v_mul_lo_u32 v10, s0, v4
	v_add_u32_e32 v8, v9, v8
	v_add_u32_e32 v8, v8, v11
	v_mul_hi_u32 v9, v4, v10
	v_mul_lo_u32 v11, v4, v8
	v_mul_hi_u32 v13, v4, v8
	v_mul_hi_u32 v12, v7, v10
	v_mul_lo_u32 v10, v7, v10
	v_mul_hi_u32 v14, v7, v8
	v_add_co_u32_e32 v9, vcc, v9, v11
	v_addc_co_u32_e32 v11, vcc, 0, v13, vcc
	v_mul_lo_u32 v8, v7, v8
	v_add_co_u32_e32 v9, vcc, v9, v10
	v_addc_co_u32_e32 v9, vcc, v11, v12, vcc
	v_addc_co_u32_e32 v10, vcc, 0, v14, vcc
	v_add_co_u32_e32 v8, vcc, v9, v8
	v_addc_co_u32_e32 v9, vcc, 0, v10, vcc
	v_add_co_u32_e32 v4, vcc, v4, v8
	v_addc_co_u32_e32 v7, vcc, v7, v9, vcc
	v_mul_lo_u32 v8, s0, v7
	v_mul_hi_u32 v9, s0, v4
	v_mul_lo_u32 v10, s1, v4
	v_mul_lo_u32 v11, s0, v4
	v_add_u32_e32 v8, v9, v8
	v_add_u32_e32 v8, v8, v10
	v_mul_lo_u32 v12, v4, v8
	v_mul_hi_u32 v13, v4, v11
	v_mul_hi_u32 v14, v4, v8
	v_mul_hi_u32 v10, v7, v11
	v_mul_lo_u32 v11, v7, v11
	v_mul_hi_u32 v9, v7, v8
	v_add_co_u32_e32 v12, vcc, v13, v12
	v_addc_co_u32_e32 v13, vcc, 0, v14, vcc
	v_mul_lo_u32 v8, v7, v8
	v_add_co_u32_e32 v11, vcc, v12, v11
	v_addc_co_u32_e32 v10, vcc, v13, v10, vcc
	v_addc_co_u32_e32 v9, vcc, 0, v9, vcc
	v_add_co_u32_e32 v8, vcc, v10, v8
	v_addc_co_u32_e32 v9, vcc, 0, v9, vcc
	v_add_co_u32_e32 v4, vcc, v4, v8
	v_addc_co_u32_e32 v9, vcc, v7, v9, vcc
	v_mad_u64_u32 v[7:8], s[0:1], v5, v9, 0
	v_mul_hi_u32 v10, v5, v4
	v_add_co_u32_e32 v11, vcc, v10, v7
	v_addc_co_u32_e32 v12, vcc, 0, v8, vcc
	v_mad_u64_u32 v[7:8], s[0:1], v6, v4, 0
	v_mad_u64_u32 v[9:10], s[0:1], v6, v9, 0
	v_add_co_u32_e32 v4, vcc, v11, v7
	v_addc_co_u32_e32 v4, vcc, v12, v8, vcc
	v_addc_co_u32_e32 v7, vcc, 0, v10, vcc
	v_add_co_u32_e32 v4, vcc, v4, v9
	v_addc_co_u32_e32 v9, vcc, 0, v7, vcc
	v_mul_lo_u32 v10, s25, v4
	v_mul_lo_u32 v11, s24, v9
	v_mad_u64_u32 v[7:8], s[0:1], s24, v4, 0
	v_add3_u32 v8, v8, v11, v10
	v_sub_u32_e32 v10, v6, v8
	v_mov_b32_e32 v11, s25
	v_sub_co_u32_e32 v7, vcc, v5, v7
	v_subb_co_u32_e64 v10, s[0:1], v10, v11, vcc
	v_subrev_co_u32_e64 v11, s[0:1], s24, v7
	v_subbrev_co_u32_e64 v10, s[0:1], 0, v10, s[0:1]
	v_cmp_le_u32_e64 s[0:1], s25, v10
	v_cndmask_b32_e64 v12, 0, -1, s[0:1]
	v_cmp_le_u32_e64 s[0:1], s24, v11
	v_cndmask_b32_e64 v11, 0, -1, s[0:1]
	v_cmp_eq_u32_e64 s[0:1], s25, v10
	v_cndmask_b32_e64 v10, v12, v11, s[0:1]
	v_add_co_u32_e64 v11, s[0:1], 2, v4
	v_addc_co_u32_e64 v12, s[0:1], 0, v9, s[0:1]
	v_add_co_u32_e64 v13, s[0:1], 1, v4
	v_addc_co_u32_e64 v14, s[0:1], 0, v9, s[0:1]
	v_subb_co_u32_e32 v8, vcc, v6, v8, vcc
	v_cmp_ne_u32_e64 s[0:1], 0, v10
	v_cmp_le_u32_e32 vcc, s25, v8
	v_cndmask_b32_e64 v10, v14, v12, s[0:1]
	v_cndmask_b32_e64 v12, 0, -1, vcc
	v_cmp_le_u32_e32 vcc, s24, v7
	v_cndmask_b32_e64 v7, 0, -1, vcc
	v_cmp_eq_u32_e32 vcc, s25, v8
	v_cndmask_b32_e32 v7, v12, v7, vcc
	v_cmp_ne_u32_e32 vcc, 0, v7
	v_cndmask_b32_e64 v7, v13, v11, s[0:1]
	v_cndmask_b32_e32 v67, v9, v10, vcc
	v_cndmask_b32_e32 v66, v4, v7, vcc
.LBB0_4:                                ;   in Loop: Header=BB0_2 Depth=1
	s_andn2_saveexec_b64 s[0:1], s[26:27]
	s_cbranch_execz .LBB0_6
; %bb.5:                                ;   in Loop: Header=BB0_2 Depth=1
	v_cvt_f32_u32_e32 v4, s24
	s_sub_i32 s26, 0, s24
	v_mov_b32_e32 v67, v3
	v_rcp_iflag_f32_e32 v4, v4
	v_mul_f32_e32 v4, 0x4f7ffffe, v4
	v_cvt_u32_f32_e32 v4, v4
	v_mul_lo_u32 v7, s26, v4
	v_mul_hi_u32 v7, v4, v7
	v_add_u32_e32 v4, v4, v7
	v_mul_hi_u32 v4, v5, v4
	v_mul_lo_u32 v7, v4, s24
	v_add_u32_e32 v8, 1, v4
	v_sub_u32_e32 v7, v5, v7
	v_subrev_u32_e32 v9, s24, v7
	v_cmp_le_u32_e32 vcc, s24, v7
	v_cndmask_b32_e32 v7, v7, v9, vcc
	v_cndmask_b32_e32 v4, v4, v8, vcc
	v_add_u32_e32 v8, 1, v4
	v_cmp_le_u32_e32 vcc, s24, v7
	v_cndmask_b32_e32 v66, v4, v8, vcc
.LBB0_6:                                ;   in Loop: Header=BB0_2 Depth=1
	s_or_b64 exec, exec, s[0:1]
	v_mul_lo_u32 v4, v67, s24
	v_mul_lo_u32 v9, v66, s25
	v_mad_u64_u32 v[7:8], s[0:1], v66, s24, 0
	s_load_dwordx2 s[0:1], s[6:7], 0x0
	s_load_dwordx2 s[24:25], s[2:3], 0x0
	v_add3_u32 v4, v8, v9, v4
	v_sub_co_u32_e32 v5, vcc, v5, v7
	v_subb_co_u32_e32 v4, vcc, v6, v4, vcc
	s_waitcnt lgkmcnt(0)
	v_mul_lo_u32 v6, s0, v4
	v_mul_lo_u32 v7, s1, v5
	v_mad_u64_u32 v[1:2], s[0:1], s0, v5, v[1:2]
	v_mul_lo_u32 v4, s24, v4
	v_mul_lo_u32 v8, s25, v5
	v_mad_u64_u32 v[64:65], s[0:1], s24, v5, v[64:65]
	s_add_u32 s22, s22, 1
	s_addc_u32 s23, s23, 0
	s_add_u32 s2, s2, 8
	v_add3_u32 v65, v8, v65, v4
	s_addc_u32 s3, s3, 0
	v_mov_b32_e32 v4, s14
	s_add_u32 s6, s6, 8
	v_mov_b32_e32 v5, s15
	s_addc_u32 s7, s7, 0
	v_cmp_ge_u64_e32 vcc, s[22:23], v[4:5]
	s_add_u32 s20, s20, 8
	v_add3_u32 v2, v7, v2, v6
	s_addc_u32 s21, s21, 0
	s_cbranch_vccnz .LBB0_9
; %bb.7:                                ;   in Loop: Header=BB0_2 Depth=1
	v_mov_b32_e32 v5, v66
	v_mov_b32_e32 v6, v67
	s_branch .LBB0_2
.LBB0_8:
	v_mov_b32_e32 v65, v2
	v_mov_b32_e32 v67, v6
	;; [unrolled: 1-line block ×4, first 2 shown]
.LBB0_9:
	s_load_dwordx2 s[4:5], s[4:5], 0x28
	s_lshl_b64 s[6:7], s[14:15], 3
	s_add_u32 s2, s18, s6
	s_addc_u32 s3, s19, s7
                                        ; implicit-def: $vgpr68
	s_waitcnt lgkmcnt(0)
	v_cmp_gt_u64_e64 s[0:1], s[4:5], v[66:67]
	v_cmp_le_u64_e32 vcc, s[4:5], v[66:67]
	s_and_saveexec_b64 s[4:5], vcc
	s_xor_b64 s[4:5], exec, s[4:5]
; %bb.10:
	s_mov_b32 s14, 0x13b13b2
	v_mul_hi_u32 v1, v0, s14
	v_mul_u32_u24_e32 v1, 0xd0, v1
	v_sub_u32_e32 v68, v0, v1
                                        ; implicit-def: $vgpr0
                                        ; implicit-def: $vgpr1_vgpr2
; %bb.11:
	s_or_saveexec_b64 s[4:5], s[4:5]
	s_load_dwordx2 s[2:3], s[2:3], 0x0
	s_xor_b64 exec, exec, s[4:5]
	s_cbranch_execz .LBB0_15
; %bb.12:
	s_add_u32 s6, s16, s6
	s_addc_u32 s7, s17, s7
	s_load_dwordx2 s[6:7], s[6:7], 0x0
	s_mov_b32 s14, 0x13b13b2
	v_mul_hi_u32 v5, v0, s14
	v_lshlrev_b64 v[1:2], 4, v[1:2]
	s_waitcnt lgkmcnt(0)
	v_mul_lo_u32 v6, s7, v66
	v_mul_lo_u32 v7, s6, v67
	v_mad_u64_u32 v[3:4], s[6:7], s6, v66, 0
	v_mul_u32_u24_e32 v5, 0xd0, v5
	v_sub_u32_e32 v68, v0, v5
	v_add3_u32 v4, v4, v7, v6
	v_lshlrev_b64 v[3:4], 4, v[3:4]
	v_mov_b32_e32 v0, s9
	v_add_co_u32_e32 v3, vcc, s8, v3
	v_addc_co_u32_e32 v0, vcc, v0, v4, vcc
	v_add_co_u32_e32 v1, vcc, v3, v1
	v_addc_co_u32_e32 v0, vcc, v0, v2, vcc
	v_lshlrev_b32_e32 v25, 4, v68
	v_add_co_u32_e32 v17, vcc, v1, v25
	v_addc_co_u32_e32 v18, vcc, 0, v0, vcc
	s_movk_i32 s6, 0x1000
	v_add_co_u32_e32 v19, vcc, s6, v17
	v_addc_co_u32_e32 v20, vcc, 0, v18, vcc
	v_add_co_u32_e32 v21, vcc, 0x2000, v17
	v_addc_co_u32_e32 v22, vcc, 0, v18, vcc
	global_load_dwordx4 v[2:5], v[17:18], off
	global_load_dwordx4 v[6:9], v[17:18], off offset:3328
	v_add_co_u32_e32 v23, vcc, 0x3000, v17
	global_load_dwordx4 v[10:13], v[19:20], off offset:2560
	global_load_dwordx4 v[14:17], v[21:22], off offset:1792
	v_addc_co_u32_e32 v24, vcc, 0, v18, vcc
	global_load_dwordx4 v[18:21], v[23:24], off offset:1024
	s_movk_i32 s6, 0xcf
	v_add_u32_e32 v22, 0, v25
	v_cmp_eq_u32_e32 vcc, s6, v68
	s_waitcnt vmcnt(4)
	ds_write_b128 v22, v[2:5]
	s_waitcnt vmcnt(3)
	ds_write_b128 v22, v[6:9] offset:3328
	s_waitcnt vmcnt(2)
	ds_write_b128 v22, v[10:13] offset:6656
	;; [unrolled: 2-line block ×4, first 2 shown]
	s_and_saveexec_b64 s[6:7], vcc
	s_cbranch_execz .LBB0_14
; %bb.13:
	v_add_co_u32_e32 v1, vcc, 0x4000, v1
	v_addc_co_u32_e32 v2, vcc, 0, v0, vcc
	global_load_dwordx4 v[0:3], v[1:2], off offset:256
	v_mov_b32_e32 v4, 0
	v_mov_b32_e32 v68, 0xcf
	s_waitcnt vmcnt(0)
	ds_write_b128 v4, v[0:3] offset:16640
.LBB0_14:
	s_or_b64 exec, exec, s[6:7]
.LBB0_15:
	s_or_b64 exec, exec, s[4:5]
	v_lshlrev_b32_e32 v0, 4, v68
	v_add_u32_e32 v79, 0, v0
	s_waitcnt lgkmcnt(0)
	s_barrier
	v_sub_u32_e32 v6, 0, v0
	ds_read_b64 v[2:3], v79
	ds_read_b64 v[4:5], v6 offset:16640
	s_add_u32 s6, s12, 0x4030
	s_addc_u32 s7, s13, 0
	v_cmp_ne_u32_e32 vcc, 0, v68
	s_waitcnt lgkmcnt(0)
	v_add_f64 v[0:1], v[2:3], v[4:5]
	v_add_f64 v[2:3], v[2:3], -v[4:5]
                                        ; implicit-def: $vgpr4_vgpr5
	s_and_saveexec_b64 s[4:5], vcc
	s_xor_b64 s[4:5], exec, s[4:5]
	s_cbranch_execz .LBB0_17
; %bb.16:
	v_mov_b32_e32 v69, 0
	v_lshlrev_b64 v[4:5], 4, v[68:69]
	v_mov_b32_e32 v7, s7
	v_add_co_u32_e32 v4, vcc, s6, v4
	v_addc_co_u32_e32 v5, vcc, v7, v5, vcc
	global_load_dwordx4 v[7:10], v[4:5], off
	ds_read_b64 v[4:5], v6 offset:16648
	ds_read_b64 v[11:12], v79 offset:8
	s_waitcnt lgkmcnt(0)
	v_add_f64 v[13:14], v[4:5], v[11:12]
	v_add_f64 v[4:5], v[11:12], -v[4:5]
	s_waitcnt vmcnt(0)
	v_fma_f64 v[11:12], v[2:3], v[9:10], v[0:1]
	v_fma_f64 v[15:16], v[13:14], v[9:10], v[4:5]
	v_fma_f64 v[4:5], v[13:14], v[9:10], -v[4:5]
	v_fma_f64 v[0:1], -v[2:3], v[9:10], v[0:1]
	v_fma_f64 v[9:10], -v[13:14], v[7:8], v[11:12]
	v_fma_f64 v[11:12], v[2:3], v[7:8], v[15:16]
	v_fma_f64 v[2:3], v[2:3], v[7:8], v[4:5]
	;; [unrolled: 1-line block ×3, first 2 shown]
	v_mov_b32_e32 v4, v68
	v_mov_b32_e32 v5, v69
	ds_write_b128 v79, v[9:12]
	ds_write_b128 v6, v[0:3] offset:16640
                                        ; implicit-def: $vgpr0_vgpr1
.LBB0_17:
	s_andn2_saveexec_b64 s[4:5], s[4:5]
	s_cbranch_execz .LBB0_19
; %bb.18:
	ds_write_b128 v79, v[0:3]
	v_mov_b32_e32 v7, 0
	ds_read_b128 v[0:3], v7 offset:8320
	v_mov_b32_e32 v4, 0
	v_mov_b32_e32 v5, 0
	s_waitcnt lgkmcnt(0)
	v_add_f64 v[0:1], v[0:1], v[0:1]
	v_mul_f64 v[2:3], v[2:3], -2.0
	ds_write_b128 v7, v[0:3] offset:8320
.LBB0_19:
	s_or_b64 exec, exec, s[4:5]
	v_lshlrev_b64 v[0:1], 4, v[4:5]
	v_mov_b32_e32 v2, s7
	v_add_co_u32_e32 v0, vcc, s6, v0
	v_addc_co_u32_e32 v1, vcc, v2, v1, vcc
	global_load_dwordx4 v[2:5], v[0:1], off offset:3328
	ds_read_b128 v[7:10], v79 offset:3328
	ds_read_b128 v[11:14], v6 offset:13312
	s_movk_i32 s4, 0x68
	v_cmp_gt_u32_e32 vcc, s4, v68
	s_waitcnt lgkmcnt(0)
	v_add_f64 v[15:16], v[7:8], v[11:12]
	v_add_f64 v[17:18], v[13:14], v[9:10]
	v_add_f64 v[19:20], v[7:8], -v[11:12]
	v_add_f64 v[7:8], v[9:10], -v[13:14]
	s_waitcnt vmcnt(0)
	v_fma_f64 v[9:10], v[19:20], v[4:5], v[15:16]
	v_fma_f64 v[11:12], v[17:18], v[4:5], v[7:8]
	v_fma_f64 v[13:14], -v[19:20], v[4:5], v[15:16]
	v_fma_f64 v[4:5], v[17:18], v[4:5], -v[7:8]
	v_fma_f64 v[7:8], -v[17:18], v[2:3], v[9:10]
	v_fma_f64 v[9:10], v[19:20], v[2:3], v[11:12]
	v_fma_f64 v[11:12], v[17:18], v[2:3], v[13:14]
	;; [unrolled: 1-line block ×3, first 2 shown]
	ds_write_b128 v79, v[7:10] offset:3328
	ds_write_b128 v6, v[11:14] offset:13312
	s_and_saveexec_b64 s[4:5], vcc
	s_cbranch_execz .LBB0_21
; %bb.20:
	s_movk_i32 s6, 0x1000
	v_add_co_u32_e32 v0, vcc, s6, v0
	v_addc_co_u32_e32 v1, vcc, 0, v1, vcc
	global_load_dwordx4 v[0:3], v[0:1], off offset:2560
	ds_read_b128 v[7:10], v79 offset:6656
	ds_read_b128 v[11:14], v6 offset:9984
	s_waitcnt lgkmcnt(0)
	v_add_f64 v[4:5], v[7:8], v[11:12]
	v_add_f64 v[15:16], v[13:14], v[9:10]
	v_add_f64 v[11:12], v[7:8], -v[11:12]
	v_add_f64 v[7:8], v[9:10], -v[13:14]
	s_waitcnt vmcnt(0)
	v_fma_f64 v[9:10], v[11:12], v[2:3], v[4:5]
	v_fma_f64 v[13:14], v[15:16], v[2:3], v[7:8]
	v_fma_f64 v[17:18], -v[11:12], v[2:3], v[4:5]
	v_fma_f64 v[19:20], v[15:16], v[2:3], -v[7:8]
	v_fma_f64 v[2:3], -v[15:16], v[0:1], v[9:10]
	v_fma_f64 v[4:5], v[11:12], v[0:1], v[13:14]
	v_fma_f64 v[7:8], v[15:16], v[0:1], v[17:18]
	;; [unrolled: 1-line block ×3, first 2 shown]
	ds_write_b128 v79, v[2:5] offset:6656
	ds_write_b128 v6, v[7:10] offset:9984
.LBB0_21:
	s_or_b64 exec, exec, s[4:5]
	s_waitcnt lgkmcnt(0)
	s_barrier
	s_barrier
	ds_read_b128 v[4:7], v79
	ds_read_b128 v[0:3], v79 offset:1280
	ds_read_b128 v[8:11], v79 offset:2560
	;; [unrolled: 1-line block ×3, first 2 shown]
	s_mov_b32 s18, 0x42a4c3d2
	s_mov_b32 s4, 0x66966769
	;; [unrolled: 1-line block ×3, first 2 shown]
	s_waitcnt lgkmcnt(2)
	v_add_f64 v[16:17], v[4:5], v[0:1]
	v_add_f64 v[18:19], v[6:7], v[2:3]
	s_mov_b32 s5, 0xbfefc445
	s_mov_b32 s24, 0x4267c47c
	;; [unrolled: 1-line block ×6, first 2 shown]
	s_waitcnt lgkmcnt(1)
	v_add_f64 v[32:33], v[16:17], v[8:9]
	v_add_f64 v[34:35], v[18:19], v[10:11]
	ds_read_b128 v[16:19], v79 offset:5120
	ds_read_b128 v[20:23], v79 offset:6400
	;; [unrolled: 1-line block ×4, first 2 shown]
	s_mov_b32 s42, 0x4bc48dbf
	s_mov_b32 s25, 0xbfddbe06
	;; [unrolled: 1-line block ×4, first 2 shown]
	s_waitcnt lgkmcnt(0)
	v_add_f64 v[40:41], v[26:27], v[30:31]
	v_add_f64 v[36:37], v[32:33], v[12:13]
	;; [unrolled: 1-line block ×3, first 2 shown]
	ds_read_b128 v[32:35], v79 offset:10240
	ds_read_b128 v[75:78], v79 offset:11520
	ds_read_b128 v[80:83], v79 offset:12800
	ds_read_b128 v[84:87], v79 offset:14080
	ds_read_b128 v[88:91], v79 offset:15360
	s_waitcnt lgkmcnt(4)
	v_add_f64 v[46:47], v[20:21], v[32:33]
	v_add_f64 v[52:53], v[22:23], v[34:35]
	v_add_f64 v[54:55], v[22:23], -v[34:35]
	s_waitcnt lgkmcnt(3)
	v_add_f64 v[48:49], v[16:17], v[75:76]
	v_add_f64 v[50:51], v[16:17], -v[75:76]
	v_add_f64 v[36:37], v[36:37], v[16:17]
	v_add_f64 v[38:39], v[38:39], v[18:19]
	s_waitcnt lgkmcnt(2)
	v_add_f64 v[58:59], v[12:13], v[80:81]
	v_add_f64 v[56:57], v[12:13], -v[80:81]
	v_add_f64 v[60:61], v[18:19], v[77:78]
	v_add_f64 v[71:72], v[18:19], -v[77:78]
	v_add_f64 v[73:74], v[14:15], v[82:83]
	s_waitcnt lgkmcnt(1)
	v_add_f64 v[69:70], v[8:9], v[84:85]
	v_add_f64 v[36:37], v[36:37], v[20:21]
	;; [unrolled: 1-line block ×3, first 2 shown]
	v_add_f64 v[62:63], v[8:9], -v[84:85]
	s_waitcnt lgkmcnt(0)
	v_add_f64 v[18:19], v[2:3], v[90:91]
	s_mov_b32 s9, 0xbfedeba7
	s_mov_b32 s21, 0xbfe5384d
	;; [unrolled: 1-line block ×4, first 2 shown]
	v_add_f64 v[42:43], v[36:37], v[24:25]
	v_add_f64 v[44:45], v[38:39], v[26:27]
	;; [unrolled: 1-line block ×3, first 2 shown]
	v_add_f64 v[38:39], v[24:25], -v[28:29]
	s_mov_b32 s14, 0xb2365da1
	s_mov_b32 s28, 0xd0032e0c
	;; [unrolled: 1-line block ×4, first 2 shown]
	v_add_f64 v[24:25], v[42:43], v[28:29]
	v_add_f64 v[28:29], v[44:45], v[30:31]
	v_add_f64 v[44:45], v[20:21], -v[32:33]
	v_add_f64 v[42:43], v[26:27], -v[30:31]
	v_add_f64 v[30:31], v[10:11], v[86:87]
	s_mov_b32 s15, 0xbfd6b1d8
	s_mov_b32 s29, 0xbfe7f3cc
	;; [unrolled: 1-line block ×3, first 2 shown]
	v_add_f64 v[20:21], v[24:25], v[32:33]
	v_add_f64 v[22:23], v[28:29], v[34:35]
	s_mov_b32 s37, 0x3fddbe06
	s_mov_b32 s36, s24
	;; [unrolled: 1-line block ×6, first 2 shown]
	v_add_f64 v[12:13], v[20:21], v[75:76]
	v_add_f64 v[16:17], v[22:23], v[77:78]
	v_add_f64 v[75:76], v[14:15], -v[82:83]
	v_add_f64 v[14:15], v[2:3], -v[90:91]
	;; [unrolled: 1-line block ×4, first 2 shown]
	v_mul_f64 v[92:93], v[18:19], s[14:15]
	v_mul_f64 v[96:97], v[18:19], s[28:29]
	v_add_f64 v[8:9], v[12:13], v[80:81]
	v_add_f64 v[10:11], v[16:17], v[82:83]
	;; [unrolled: 1-line block ×3, first 2 shown]
	v_mul_f64 v[2:3], v[14:15], s[18:19]
	v_mul_f64 v[22:23], v[14:15], s[4:5]
	;; [unrolled: 1-line block ×4, first 2 shown]
	s_mov_b32 s31, 0x3fedeba7
	v_add_f64 v[0:1], v[8:9], v[84:85]
	v_add_f64 v[8:9], v[10:11], v[86:87]
	v_mul_f64 v[10:11], v[14:15], s[8:9]
	v_fma_f64 v[26:27], v[12:13], s[16:17], v[2:3]
	v_fma_f64 v[28:29], v[12:13], s[16:17], -v[2:3]
	v_fma_f64 v[32:33], v[12:13], s[6:7], v[22:23]
	v_fma_f64 v[24:25], v[12:13], s[22:23], v[16:17]
	v_fma_f64 v[16:17], v[12:13], s[22:23], -v[16:17]
	v_add_f64 v[0:1], v[0:1], v[88:89]
	v_add_f64 v[2:3], v[8:9], v[90:91]
	v_fma_f64 v[8:9], v[12:13], s[6:7], -v[22:23]
	v_mul_f64 v[22:23], v[14:15], s[20:21]
	v_mul_f64 v[14:15], v[14:15], s[42:43]
	v_fma_f64 v[34:35], v[12:13], s[14:15], v[10:11]
	v_fma_f64 v[10:11], v[12:13], s[14:15], -v[10:11]
	v_mul_f64 v[88:89], v[18:19], s[6:7]
	v_fma_f64 v[86:87], v[20:21], s[36:37], v[82:83]
	s_mov_b32 s30, s8
	s_mov_b32 s39, 0x3fe5384d
	v_fma_f64 v[80:81], v[12:13], s[28:29], v[22:23]
	v_fma_f64 v[22:23], v[12:13], s[28:29], -v[22:23]
	v_fma_f64 v[84:85], v[12:13], s[40:41], v[14:15]
	v_fma_f64 v[12:13], v[12:13], s[40:41], -v[14:15]
	v_mul_f64 v[14:15], v[18:19], s[16:17]
	v_fma_f64 v[94:95], v[20:21], s[26:27], v[88:89]
	v_mul_f64 v[18:19], v[18:19], s[40:41]
	s_mov_b32 s38, s20
	s_mov_b32 s45, 0x3fcea1e5
	;; [unrolled: 1-line block ×3, first 2 shown]
	v_fma_f64 v[82:83], v[20:21], s[24:25], v[82:83]
	v_fma_f64 v[88:89], v[20:21], s[4:5], v[88:89]
	;; [unrolled: 1-line block ×10, first 2 shown]
	v_add_f64 v[20:21], v[4:5], v[24:25]
	v_add_f64 v[24:25], v[6:7], v[86:87]
	;; [unrolled: 1-line block ×5, first 2 shown]
	v_mul_f64 v[8:9], v[77:78], s[18:19]
	v_mul_f64 v[104:105], v[30:31], s[16:17]
	v_add_f64 v[106:107], v[4:5], v[10:11]
	v_mul_f64 v[110:111], v[75:76], s[4:5]
	v_mul_f64 v[112:113], v[73:74], s[6:7]
	v_add_f64 v[114:115], v[4:5], v[22:23]
	v_mul_f64 v[116:117], v[60:61], s[14:15]
	v_add_f64 v[16:17], v[4:5], v[16:17]
	v_fma_f64 v[10:11], v[69:70], s[16:17], v[8:9]
	v_fma_f64 v[108:109], v[62:63], s[34:35], v[104:105]
	v_add_f64 v[82:83], v[6:7], v[82:83]
	v_fma_f64 v[22:23], v[58:59], s[6:7], v[110:111]
	v_add_f64 v[26:27], v[4:5], v[26:27]
	v_add_f64 v[28:29], v[4:5], v[28:29]
	;; [unrolled: 1-line block ×6, first 2 shown]
	v_fma_f64 v[24:25], v[56:57], s[26:27], v[112:113]
	v_mul_f64 v[108:109], v[71:72], s[8:9]
	v_add_f64 v[88:89], v[6:7], v[88:89]
	v_add_f64 v[34:35], v[4:5], v[34:35]
	;; [unrolled: 1-line block ×11, first 2 shown]
	v_fma_f64 v[4:5], v[69:70], s[16:17], -v[8:9]
	v_fma_f64 v[6:7], v[62:63], s[18:19], v[104:105]
	v_add_f64 v[8:9], v[22:23], v[10:11]
	v_add_f64 v[10:11], v[24:25], v[20:21]
	v_fma_f64 v[12:13], v[48:49], s[14:15], v[108:109]
	v_fma_f64 v[18:19], v[50:51], s[30:31], v[116:117]
	v_mul_f64 v[20:21], v[54:55], s[20:21]
	v_mul_f64 v[22:23], v[52:53], s[28:29]
	v_add_f64 v[4:5], v[4:5], v[16:17]
	v_add_f64 v[6:7], v[6:7], v[82:83]
	v_fma_f64 v[16:17], v[58:59], s[6:7], -v[110:111]
	v_fma_f64 v[24:25], v[56:57], s[4:5], v[112:113]
	v_add_f64 v[8:9], v[12:13], v[8:9]
	v_add_f64 v[10:11], v[18:19], v[10:11]
	v_fma_f64 v[12:13], v[46:47], s[28:29], v[20:21]
	v_fma_f64 v[18:19], v[44:45], s[38:39], v[22:23]
	v_mul_f64 v[82:83], v[42:43], s[42:43]
	v_mul_f64 v[104:105], v[40:41], s[40:41]
	v_add_f64 v[4:5], v[16:17], v[4:5]
	v_add_f64 v[6:7], v[24:25], v[6:7]
	;; [unrolled: 10-line block ×17, first 2 shown]
	v_fma_f64 v[82:83], v[48:49], s[6:7], -v[112:113]
	v_fma_f64 v[86:87], v[50:51], s[4:5], v[116:117]
	v_add_f64 v[28:29], v[90:91], v[28:29]
	v_add_f64 v[88:89], v[92:93], v[88:89]
	v_mul_f64 v[90:91], v[77:78], s[26:27]
	v_mul_f64 v[92:93], v[30:31], s[6:7]
	v_fma_f64 v[108:109], v[36:37], s[16:17], v[94:95]
	v_fma_f64 v[110:111], v[38:39], s[18:19], v[106:107]
	v_add_f64 v[82:83], v[82:83], v[24:25]
	v_add_f64 v[86:87], v[86:87], v[26:27]
	v_fma_f64 v[98:99], v[46:47], s[40:41], -v[98:99]
	v_fma_f64 v[104:105], v[44:45], s[44:45], v[104:105]
	v_fma_f64 v[112:113], v[69:70], s[6:7], v[90:91]
	;; [unrolled: 1-line block ×3, first 2 shown]
	v_mul_f64 v[122:123], v[75:76], s[18:19]
	v_mul_f64 v[124:125], v[73:74], s[16:17]
	v_add_f64 v[24:25], v[108:109], v[28:29]
	v_add_f64 v[26:27], v[110:111], v[88:89]
	;; [unrolled: 1-line block ×6, first 2 shown]
	v_fma_f64 v[88:89], v[58:59], s[16:17], v[122:123]
	v_fma_f64 v[98:99], v[56:57], s[34:35], v[124:125]
	v_mul_f64 v[100:101], v[71:72], s[44:45]
	v_mul_f64 v[104:105], v[60:61], s[40:41]
	v_fma_f64 v[90:91], v[69:70], s[6:7], -v[90:91]
	v_fma_f64 v[92:93], v[62:63], s[26:27], v[92:93]
	v_mul_f64 v[108:109], v[54:55], s[36:37]
	v_fma_f64 v[112:113], v[56:57], s[18:19], v[124:125]
	v_add_f64 v[80:81], v[88:89], v[80:81]
	v_add_f64 v[86:87], v[98:99], v[86:87]
	v_fma_f64 v[88:89], v[48:49], s[40:41], v[100:101]
	v_fma_f64 v[98:99], v[50:51], s[42:43], v[104:105]
	v_add_f64 v[90:91], v[90:91], v[114:115]
	v_add_f64 v[92:93], v[92:93], v[96:97]
	v_fma_f64 v[96:97], v[58:59], s[16:17], -v[122:123]
	v_fma_f64 v[106:107], v[38:39], s[34:35], v[106:107]
	v_mul_f64 v[77:78], v[77:78], s[36:37]
	v_mul_f64 v[75:76], v[75:76], s[20:21]
	v_add_f64 v[80:81], v[88:89], v[80:81]
	v_add_f64 v[86:87], v[98:99], v[86:87]
	v_fma_f64 v[88:89], v[46:47], s[22:23], v[108:109]
	v_add_f64 v[92:93], v[112:113], v[92:93]
	v_add_f64 v[90:91], v[96:97], v[90:91]
	v_fma_f64 v[96:97], v[48:49], s[40:41], -v[100:101]
	v_fma_f64 v[98:99], v[50:51], s[44:45], v[104:105]
	v_mul_f64 v[100:101], v[30:31], s[22:23]
	v_add_f64 v[30:31], v[106:107], v[82:83]
	v_fma_f64 v[82:83], v[69:70], s[22:23], v[77:78]
	v_add_f64 v[80:81], v[88:89], v[80:81]
	v_mul_f64 v[73:74], v[73:74], s[28:29]
	v_fma_f64 v[69:70], v[69:70], s[22:23], -v[77:78]
	v_add_f64 v[88:89], v[96:97], v[90:91]
	v_add_f64 v[90:91], v[98:99], v[92:93]
	v_fma_f64 v[92:93], v[62:63], s[24:25], v[100:101]
	v_fma_f64 v[62:63], v[62:63], s[36:37], v[100:101]
	v_fma_f64 v[94:95], v[36:37], s[16:17], -v[94:95]
	v_mul_f64 v[110:111], v[52:53], s[22:23]
	v_add_f64 v[82:83], v[82:83], v[84:85]
	v_fma_f64 v[84:85], v[58:59], s[28:29], v[75:76]
	v_mul_f64 v[71:72], v[71:72], s[34:35]
	v_fma_f64 v[96:97], v[56:57], s[38:39], v[73:74]
	v_add_f64 v[92:93], v[92:93], v[102:103]
	v_mul_f64 v[60:61], v[60:61], s[16:17]
	v_add_f64 v[69:70], v[69:70], v[118:119]
	v_fma_f64 v[58:59], v[58:59], s[28:29], -v[75:76]
	v_add_f64 v[62:63], v[62:63], v[120:121]
	v_fma_f64 v[56:57], v[56:57], s[20:21], v[73:74]
	v_add_f64 v[28:29], v[94:95], v[28:29]
	v_fma_f64 v[94:95], v[44:45], s[24:25], v[110:111]
	;; [unrolled: 2-line block ×3, first 2 shown]
	v_mul_f64 v[54:55], v[54:55], s[8:9]
	v_add_f64 v[75:76], v[96:97], v[92:93]
	v_fma_f64 v[92:93], v[50:51], s[18:19], v[60:61]
	v_mul_f64 v[52:53], v[52:53], s[14:15]
	v_add_f64 v[58:59], v[58:59], v[69:70]
	v_fma_f64 v[48:49], v[48:49], s[16:17], -v[71:72]
	v_add_f64 v[56:57], v[56:57], v[62:63]
	v_fma_f64 v[50:51], v[50:51], s[34:35], v[60:61]
	v_add_f64 v[86:87], v[94:95], v[86:87]
	v_fma_f64 v[94:95], v[46:47], s[22:23], -v[108:109]
	v_fma_f64 v[77:78], v[44:45], s[36:37], v[110:111]
	v_add_f64 v[73:74], v[84:85], v[82:83]
	v_fma_f64 v[82:83], v[46:47], s[14:15], v[54:55]
	v_add_f64 v[71:72], v[92:93], v[75:76]
	;; [unrolled: 2-line block ×3, first 2 shown]
	v_mul_f64 v[58:59], v[42:43], s[8:9]
	v_fma_f64 v[46:47], v[46:47], s[14:15], -v[54:55]
	v_mul_f64 v[54:55], v[40:41], s[14:15]
	v_add_f64 v[50:51], v[50:51], v[56:57]
	v_fma_f64 v[44:45], v[44:45], s[8:9], v[52:53]
	v_mul_f64 v[42:43], v[42:43], s[26:27]
	v_mul_f64 v[40:41], v[40:41], s[6:7]
	v_add_f64 v[69:70], v[94:95], v[88:89]
	v_add_f64 v[60:61], v[77:78], v[90:91]
	;; [unrolled: 1-line block ×4, first 2 shown]
	v_fma_f64 v[52:53], v[36:37], s[14:15], v[58:59]
	v_add_f64 v[46:47], v[46:47], v[48:49]
	v_fma_f64 v[48:49], v[38:39], s[30:31], v[54:55]
	v_fma_f64 v[56:57], v[36:37], s[14:15], -v[58:59]
	v_fma_f64 v[54:55], v[38:39], s[8:9], v[54:55]
	v_add_f64 v[58:59], v[44:45], v[50:51]
	v_fma_f64 v[44:45], v[36:37], s[6:7], v[42:43]
	v_fma_f64 v[50:51], v[38:39], s[4:5], v[40:41]
	v_fma_f64 v[71:72], v[36:37], s[6:7], -v[42:43]
	v_fma_f64 v[75:76], v[38:39], s[26:27], v[40:41]
	v_add_f64 v[36:37], v[52:53], v[80:81]
	v_add_f64 v[38:39], v[48:49], v[86:87]
	;; [unrolled: 1-line block ×8, first 2 shown]
	s_movk_i32 s4, 0x50
	v_cmp_gt_u32_e32 vcc, s4, v68
	s_barrier
	s_and_saveexec_b64 s[4:5], vcc
	s_cbranch_execz .LBB0_23
; %bb.22:
	s_movk_i32 s6, 0xc0
	v_mad_u32_u24 v52, v68, s6, v79
	ds_write_b128 v52, v[0:3]
	ds_write_b128 v52, v[4:7] offset:16
	ds_write_b128 v52, v[12:15] offset:32
	;; [unrolled: 1-line block ×12, first 2 shown]
.LBB0_23:
	s_or_b64 exec, exec, s[4:5]
	s_movk_i32 s4, 0x41
	v_cmp_gt_u32_e32 vcc, s4, v68
	s_waitcnt lgkmcnt(0)
	s_barrier
	s_waitcnt lgkmcnt(0)
                                        ; implicit-def: $vgpr54_vgpr55
                                        ; implicit-def: $vgpr62_vgpr63
                                        ; implicit-def: $vgpr58_vgpr59
	s_and_saveexec_b64 s[4:5], vcc
	s_cbranch_execz .LBB0_25
; %bb.24:
	ds_read_b128 v[0:3], v79
	ds_read_b128 v[4:7], v79 offset:1040
	ds_read_b128 v[12:15], v79 offset:2080
	;; [unrolled: 1-line block ×15, first 2 shown]
.LBB0_25:
	s_or_b64 exec, exec, s[4:5]
	s_waitcnt lgkmcnt(0)
	s_barrier
	s_and_saveexec_b64 s[4:5], vcc
	s_cbranch_execz .LBB0_27
; %bb.26:
	s_movk_i32 s6, 0x4f
	v_mul_lo_u16_sdwa v69, v68, s6 dst_sel:DWORD dst_unused:UNUSED_PAD src0_sel:BYTE_0 src1_sel:DWORD
	v_lshrrev_b16_e32 v69, 10, v69
	v_mul_lo_u16_e32 v70, 13, v69
	v_sub_u16_e32 v70, v68, v70
	v_mov_b32_e32 v71, 15
	v_mul_u32_u24_sdwa v71, v70, v71 dst_sel:DWORD dst_unused:UNUSED_PAD src0_sel:BYTE_0 src1_sel:DWORD
	v_lshlrev_b32_e32 v124, 4, v71
	global_load_dwordx4 v[71:74], v124, s[12:13] offset:16
	global_load_dwordx4 v[75:78], v124, s[12:13] offset:144
	;; [unrolled: 1-line block ×6, first 2 shown]
	global_load_dwordx4 v[96:99], v124, s[12:13]
	global_load_dwordx4 v[100:103], v124, s[12:13] offset:112
	global_load_dwordx4 v[104:107], v124, s[12:13] offset:176
	;; [unrolled: 1-line block ×4, first 2 shown]
	s_mov_b32 s6, 0x667f3bcd
	s_mov_b32 s7, 0x3fe6a09e
	;; [unrolled: 1-line block ×12, first 2 shown]
	v_mul_u32_u24_e32 v69, 0xd0, v69
	v_or_b32_sdwa v69, v69, v70 dst_sel:DWORD dst_unused:UNUSED_PAD src0_sel:DWORD src1_sel:BYTE_0
	v_lshl_add_u32 v69, v69, 4, 0
	s_waitcnt vmcnt(10)
	v_mul_f64 v[116:117], v[12:13], v[73:74]
	v_mul_f64 v[73:74], v[14:15], v[73:74]
	s_waitcnt vmcnt(9)
	v_mul_f64 v[118:119], v[32:33], v[77:78]
	v_mul_f64 v[77:78], v[34:35], v[77:78]
	v_fma_f64 v[116:117], v[14:15], v[71:72], -v[116:117]
	v_fma_f64 v[120:121], v[12:13], v[71:72], v[73:74]
	global_load_dwordx4 v[12:15], v124, s[12:13] offset:96
	global_load_dwordx4 v[71:74], v124, s[12:13] offset:64
	v_fma_f64 v[118:119], v[34:35], v[75:76], -v[118:119]
	v_fma_f64 v[122:123], v[32:33], v[75:76], v[77:78]
	global_load_dwordx4 v[32:35], v124, s[12:13] offset:224
	global_load_dwordx4 v[75:78], v124, s[12:13] offset:192
	s_waitcnt vmcnt(12)
	v_mul_f64 v[124:125], v[50:51], v[82:83]
	v_mul_f64 v[82:83], v[48:49], v[82:83]
	v_fma_f64 v[48:49], v[48:49], v[80:81], v[124:125]
	v_fma_f64 v[50:51], v[50:51], v[80:81], -v[82:83]
	s_waitcnt vmcnt(11)
	v_mul_f64 v[80:81], v[62:63], v[86:87]
	v_mul_f64 v[82:83], v[60:61], v[86:87]
	s_waitcnt vmcnt(9)
	v_mul_f64 v[86:87], v[16:17], v[94:95]
	v_mul_f64 v[94:95], v[18:19], v[94:95]
	v_fma_f64 v[60:61], v[60:61], v[84:85], v[80:81]
	v_fma_f64 v[62:63], v[62:63], v[84:85], -v[82:83]
	s_waitcnt vmcnt(5)
	v_mul_f64 v[84:85], v[20:21], v[110:111]
	v_mul_f64 v[110:111], v[22:23], v[110:111]
	v_fma_f64 v[16:17], v[16:17], v[92:93], v[94:95]
	v_mul_f64 v[80:81], v[40:41], v[102:103]
	v_mul_f64 v[82:83], v[26:27], v[90:91]
	v_fma_f64 v[18:19], v[18:19], v[92:93], -v[86:87]
	v_mul_f64 v[86:87], v[10:11], v[106:107]
	v_mul_f64 v[92:93], v[4:5], v[98:99]
	v_fma_f64 v[22:23], v[22:23], v[108:109], -v[84:85]
	v_fma_f64 v[20:21], v[20:21], v[108:109], v[110:111]
	s_waitcnt vmcnt(4)
	v_mul_f64 v[84:85], v[28:29], v[114:115]
	v_add_f64 v[22:23], v[18:19], -v[22:23]
	v_add_f64 v[20:21], v[16:17], -v[20:21]
	v_fma_f64 v[16:17], v[16:17], 2.0, -v[20:21]
	s_waitcnt vmcnt(3)
	v_mul_f64 v[94:95], v[46:47], v[14:15]
	v_mul_f64 v[14:15], v[44:45], v[14:15]
	s_waitcnt vmcnt(2)
	v_mul_f64 v[108:109], v[38:39], v[73:74]
	s_waitcnt vmcnt(1)
	v_mul_f64 v[110:111], v[58:59], v[34:35]
	v_mul_f64 v[34:35], v[56:57], v[34:35]
	;; [unrolled: 1-line block ×3, first 2 shown]
	v_fma_f64 v[44:45], v[44:45], v[12:13], v[94:95]
	v_fma_f64 v[12:13], v[46:47], v[12:13], -v[14:15]
	s_waitcnt vmcnt(0)
	v_mul_f64 v[14:15], v[54:55], v[77:78]
	v_mul_f64 v[46:47], v[6:7], v[98:99]
	;; [unrolled: 1-line block ×3, first 2 shown]
	v_fma_f64 v[56:57], v[56:57], v[32:33], v[110:111]
	v_fma_f64 v[32:33], v[58:59], v[32:33], -v[34:35]
	v_mul_f64 v[34:35], v[52:53], v[77:78]
	v_mul_f64 v[58:59], v[24:25], v[90:91]
	;; [unrolled: 1-line block ×4, first 2 shown]
	v_fma_f64 v[42:43], v[42:43], v[100:101], -v[80:81]
	v_fma_f64 v[24:25], v[24:25], v[88:89], v[82:83]
	v_fma_f64 v[8:9], v[8:9], v[104:105], v[86:87]
	v_fma_f64 v[6:7], v[6:7], v[96:97], -v[92:93]
	v_fma_f64 v[30:31], v[30:31], v[112:113], -v[84:85]
	v_fma_f64 v[36:37], v[36:37], v[71:72], v[108:109]
	v_fma_f64 v[14:15], v[52:53], v[75:76], v[14:15]
	;; [unrolled: 1-line block ×4, first 2 shown]
	v_fma_f64 v[38:39], v[38:39], v[71:72], -v[73:74]
	v_fma_f64 v[34:35], v[54:55], v[75:76], -v[34:35]
	;; [unrolled: 1-line block ×4, first 2 shown]
	v_fma_f64 v[40:41], v[40:41], v[100:101], v[90:91]
	v_add_f64 v[46:47], v[116:117], -v[118:119]
	v_add_f64 v[52:53], v[48:49], -v[60:61]
	;; [unrolled: 1-line block ×18, first 2 shown]
	v_add_f64 v[71:72], v[54:55], v[58:59]
	v_add_f64 v[77:78], v[20:21], v[32:33]
	v_add_f64 v[80:81], v[28:29], v[34:35]
	v_add_f64 v[82:83], v[40:41], v[10:11]
	v_fma_f64 v[84:85], v[2:3], 2.0, -v[42:43]
	v_fma_f64 v[2:3], v[26:27], 2.0, -v[10:11]
	v_fma_f64 v[10:11], v[60:61], s[6:7], v[62:63]
	v_fma_f64 v[86:87], v[75:76], s[6:7], v[73:74]
	v_fma_f64 v[48:49], v[48:49], 2.0, -v[52:53]
	v_fma_f64 v[52:53], v[6:7], 2.0, -v[30:31]
	;; [unrolled: 1-line block ×4, first 2 shown]
	v_fma_f64 v[38:39], v[77:78], s[6:7], v[80:81]
	v_fma_f64 v[26:27], v[120:121], 2.0, -v[54:55]
	v_fma_f64 v[44:45], v[71:72], s[8:9], v[10:11]
	v_fma_f64 v[56:57], v[77:78], s[8:9], v[86:87]
	v_fma_f64 v[10:11], v[36:37], 2.0, -v[14:15]
	v_fma_f64 v[12:13], v[12:13], 2.0, -v[32:33]
	v_fma_f64 v[32:33], v[71:72], s[6:7], v[82:83]
	v_fma_f64 v[4:5], v[4:5], 2.0, -v[28:29]
	v_fma_f64 v[36:37], v[75:76], s[6:7], v[38:39]
	v_fma_f64 v[14:15], v[18:19], 2.0, -v[22:23]
	v_fma_f64 v[50:51], v[50:51], 2.0, -v[58:59]
	v_fma_f64 v[38:39], v[56:57], s[14:15], v[44:45]
	v_fma_f64 v[58:59], v[0:1], 2.0, -v[40:41]
	v_add_f64 v[86:87], v[84:85], -v[2:3]
	v_add_f64 v[48:49], v[26:27], -v[48:49]
	;; [unrolled: 1-line block ×4, first 2 shown]
	v_fma_f64 v[20:21], v[20:21], 2.0, -v[77:78]
	v_fma_f64 v[28:29], v[28:29], 2.0, -v[80:81]
	v_fma_f64 v[2:3], v[36:37], s[16:17], v[38:39]
	v_fma_f64 v[38:39], v[54:55], 2.0, -v[71:72]
	v_fma_f64 v[40:41], v[40:41], 2.0, -v[82:83]
	;; [unrolled: 1-line block ×3, first 2 shown]
	v_fma_f64 v[32:33], v[60:61], s[6:7], v[32:33]
	v_fma_f64 v[8:9], v[24:25], 2.0, -v[8:9]
	v_fma_f64 v[34:35], v[42:43], 2.0, -v[62:63]
	;; [unrolled: 1-line block ×5, first 2 shown]
	v_add_f64 v[42:43], v[86:87], -v[48:49]
	v_add_f64 v[46:47], v[88:89], -v[0:1]
	;; [unrolled: 1-line block ×4, first 2 shown]
	v_fma_f64 v[75:76], v[20:21], s[8:9], v[28:29]
	v_fma_f64 v[77:78], v[38:39], s[8:9], v[40:41]
	v_add_f64 v[10:11], v[18:19], -v[50:51]
	v_add_f64 v[50:51], v[58:59], -v[8:9]
	v_fma_f64 v[8:9], v[24:25], s[8:9], v[34:35]
	v_fma_f64 v[30:31], v[22:23], s[8:9], v[60:61]
	;; [unrolled: 1-line block ×3, first 2 shown]
	v_add_f64 v[92:93], v[71:72], v[12:13]
	v_fma_f64 v[75:76], v[22:23], s[6:7], v[75:76]
	v_fma_f64 v[77:78], v[24:25], s[6:7], v[77:78]
	v_fma_f64 v[98:99], v[4:5], 2.0, -v[71:72]
	v_fma_f64 v[4:5], v[16:17], 2.0, -v[0:1]
	v_fma_f64 v[54:55], v[36:37], s[14:15], v[32:33]
	v_fma_f64 v[38:39], v[38:39], s[8:9], v[8:9]
	;; [unrolled: 1-line block ×3, first 2 shown]
	v_fma_f64 v[84:85], v[84:85], 2.0, -v[86:87]
	v_fma_f64 v[8:9], v[18:19], 2.0, -v[10:11]
	v_add_f64 v[94:95], v[50:51], v[10:11]
	v_fma_f64 v[10:11], v[92:93], s[8:9], v[90:91]
	v_fma_f64 v[20:21], v[75:76], s[18:19], v[77:78]
	v_add_f64 v[90:91], v[98:99], -v[4:5]
	v_fma_f64 v[58:59], v[58:59], 2.0, -v[50:51]
	v_fma_f64 v[4:5], v[26:27], 2.0, -v[48:49]
	;; [unrolled: 1-line block ×4, first 2 shown]
	v_fma_f64 v[0:1], v[56:57], s[18:19], v[54:55]
	v_fma_f64 v[18:19], v[96:97], s[18:19], v[38:39]
	v_add_f64 v[54:55], v[84:85], -v[8:9]
	v_fma_f64 v[16:17], v[92:93], s[6:7], v[94:95]
	v_fma_f64 v[12:13], v[96:97], s[14:15], v[20:21]
	v_add_f64 v[100:101], v[58:59], -v[4:5]
	v_fma_f64 v[62:63], v[62:63], 2.0, -v[44:45]
	v_add_f64 v[52:53], v[48:49], -v[22:23]
	v_fma_f64 v[56:57], v[73:74], 2.0, -v[56:57]
	v_fma_f64 v[4:5], v[32:33], 2.0, -v[0:1]
	;; [unrolled: 1-line block ×11, first 2 shown]
	v_fma_f64 v[14:15], v[75:76], s[20:21], v[18:19]
	v_add_f64 v[18:19], v[54:55], -v[90:91]
	v_fma_f64 v[75:76], v[50:51], 2.0, -v[94:95]
	v_fma_f64 v[6:7], v[44:45], 2.0, -v[2:3]
	v_fma_f64 v[8:9], v[46:47], s[6:7], v[16:17]
	v_fma_f64 v[24:25], v[77:78], 2.0, -v[12:13]
	v_fma_f64 v[44:45], v[56:57], s[16:17], v[62:63]
	v_fma_f64 v[77:78], v[84:85], 2.0, -v[54:55]
	v_fma_f64 v[46:47], v[48:49], 2.0, -v[52:53]
	;; [unrolled: 1-line block ×4, first 2 shown]
	v_add_f64 v[16:17], v[100:101], v[52:53]
	v_fma_f64 v[40:41], v[60:61], s[20:21], v[88:89]
	v_fma_f64 v[52:53], v[28:29], s[20:21], v[71:72]
	v_fma_f64 v[30:31], v[54:55], 2.0, -v[18:19]
	v_fma_f64 v[36:37], v[86:87], s[8:9], v[73:74]
	v_fma_f64 v[54:55], v[32:33], s[8:9], v[75:76]
	;; [unrolled: 1-line block ×4, first 2 shown]
	v_add_f64 v[46:47], v[77:78], -v[46:47]
	v_add_f64 v[44:45], v[48:49], -v[50:51]
	v_fma_f64 v[22:23], v[42:43], 2.0, -v[10:11]
	v_fma_f64 v[42:43], v[28:29], s[16:17], v[40:41]
	v_fma_f64 v[40:41], v[60:61], s[18:19], v[52:53]
	v_fma_f64 v[26:27], v[38:39], 2.0, -v[14:15]
	v_fma_f64 v[38:39], v[32:33], s[8:9], v[36:37]
	v_fma_f64 v[36:37], v[86:87], s[6:7], v[54:55]
	;; [unrolled: 1-line block ×3, first 2 shown]
	v_fma_f64 v[50:51], v[62:63], 2.0, -v[34:35]
	v_fma_f64 v[62:63], v[77:78], 2.0, -v[46:47]
	;; [unrolled: 1-line block ×10, first 2 shown]
	ds_write_b128 v69, v[60:63]
	ds_write_b128 v69, v[56:59] offset:208
	ds_write_b128 v69, v[52:55] offset:416
	;; [unrolled: 1-line block ×15, first 2 shown]
.LBB0_27:
	s_or_b64 exec, exec, s[4:5]
	v_lshlrev_b32_e32 v0, 2, v68
	v_mov_b32_e32 v1, 0
	v_lshlrev_b64 v[2:3], 4, v[0:1]
	v_mov_b32_e32 v0, s13
	v_add_co_u32_e32 v18, vcc, s12, v2
	v_addc_co_u32_e32 v19, vcc, v0, v3, vcc
	s_waitcnt lgkmcnt(0)
	s_barrier
	global_load_dwordx4 v[2:5], v[18:19], off offset:3120
	global_load_dwordx4 v[6:9], v[18:19], off offset:3136
	global_load_dwordx4 v[10:13], v[18:19], off offset:3152
	global_load_dwordx4 v[14:17], v[18:19], off offset:3168
	ds_read_b128 v[18:21], v79
	ds_read_b128 v[22:25], v79 offset:3328
	ds_read_b128 v[26:29], v79 offset:6656
	;; [unrolled: 1-line block ×4, first 2 shown]
	s_mov_b32 s8, 0x134454ff
	s_mov_b32 s9, 0xbfee6f0e
	;; [unrolled: 1-line block ×10, first 2 shown]
	s_waitcnt vmcnt(0) lgkmcnt(0)
	s_barrier
	v_mul_f64 v[38:39], v[24:25], v[4:5]
	v_mul_f64 v[4:5], v[22:23], v[4:5]
	;; [unrolled: 1-line block ×8, first 2 shown]
	v_fma_f64 v[22:23], v[22:23], v[2:3], v[38:39]
	v_fma_f64 v[2:3], v[24:25], v[2:3], -v[4:5]
	v_fma_f64 v[4:5], v[26:27], v[6:7], v[40:41]
	v_fma_f64 v[6:7], v[28:29], v[6:7], -v[8:9]
	;; [unrolled: 2-line block ×3, first 2 shown]
	v_fma_f64 v[10:11], v[32:33], v[10:11], -v[12:13]
	v_fma_f64 v[12:13], v[34:35], v[14:15], v[16:17]
	v_add_f64 v[14:15], v[18:19], v[22:23]
	v_add_f64 v[40:41], v[20:21], v[2:3]
	v_add_f64 v[30:31], v[22:23], -v[4:5]
	v_add_f64 v[36:37], v[4:5], -v[22:23]
	v_add_f64 v[16:17], v[4:5], v[8:9]
	v_add_f64 v[50:51], v[2:3], v[24:25]
	;; [unrolled: 1-line block ×3, first 2 shown]
	v_add_f64 v[32:33], v[12:13], -v[8:9]
	v_add_f64 v[34:35], v[22:23], v[12:13]
	v_add_f64 v[26:27], v[2:3], -v[24:25]
	v_add_f64 v[28:29], v[6:7], -v[10:11]
	;; [unrolled: 1-line block ×8, first 2 shown]
	v_add_f64 v[4:5], v[14:15], v[4:5]
	v_fma_f64 v[14:15], v[16:17], -0.5, v[18:19]
	v_add_f64 v[16:17], v[30:31], v[32:33]
	v_add_f64 v[6:7], v[40:41], v[6:7]
	v_fma_f64 v[32:33], v[42:43], -0.5, v[20:21]
	v_fma_f64 v[18:19], v[34:35], -0.5, v[18:19]
	;; [unrolled: 1-line block ×3, first 2 shown]
	v_add_f64 v[48:49], v[24:25], -v[10:11]
	v_add_f64 v[30:31], v[36:37], v[38:39]
	v_add_f64 v[36:37], v[2:3], v[52:53]
	;; [unrolled: 1-line block ×3, first 2 shown]
	v_fma_f64 v[4:5], v[26:27], s[8:9], v[14:15]
	v_fma_f64 v[8:9], v[26:27], s[12:13], v[14:15]
	v_add_f64 v[6:7], v[6:7], v[10:11]
	v_fma_f64 v[10:11], v[22:23], s[12:13], v[32:33]
	v_fma_f64 v[14:15], v[28:29], s[12:13], v[18:19]
	;; [unrolled: 1-line block ×6, first 2 shown]
	v_add_f64 v[34:35], v[46:47], v[48:49]
	v_add_f64 v[2:3], v[2:3], v[12:13]
	v_fma_f64 v[12:13], v[28:29], s[4:5], v[4:5]
	v_fma_f64 v[8:9], v[28:29], s[14:15], v[8:9]
	v_add_f64 v[4:5], v[6:7], v[24:25]
	v_fma_f64 v[24:25], v[44:45], s[14:15], v[10:11]
	v_fma_f64 v[14:15], v[26:27], s[4:5], v[14:15]
	v_fma_f64 v[18:19], v[26:27], s[14:15], v[18:19]
	v_fma_f64 v[26:27], v[22:23], s[14:15], v[38:39]
	v_fma_f64 v[20:21], v[22:23], s[4:5], v[20:21]
	v_fma_f64 v[22:23], v[44:45], s[4:5], v[32:33]
	v_fma_f64 v[6:7], v[16:17], s[6:7], v[12:13]
	v_fma_f64 v[10:11], v[16:17], s[6:7], v[8:9]
	v_fma_f64 v[8:9], v[34:35], s[6:7], v[24:25]
	v_fma_f64 v[14:15], v[30:31], s[6:7], v[14:15]
	v_fma_f64 v[18:19], v[30:31], s[6:7], v[18:19]
	v_fma_f64 v[16:17], v[36:37], s[6:7], v[26:27]
	v_fma_f64 v[20:21], v[36:37], s[6:7], v[20:21]
	v_fma_f64 v[12:13], v[34:35], s[6:7], v[22:23]
	ds_write_b128 v79, v[2:5]
	ds_write_b128 v79, v[6:9] offset:3328
	ds_write_b128 v79, v[14:17] offset:6656
	;; [unrolled: 1-line block ×4, first 2 shown]
	s_waitcnt lgkmcnt(0)
	s_barrier
	s_and_saveexec_b64 s[4:5], s[0:1]
	s_cbranch_execz .LBB0_29
; %bb.28:
	v_mul_lo_u32 v0, s3, v66
	v_mul_lo_u32 v2, s2, v67
	v_mad_u64_u32 v[6:7], s[0:1], s2, v66, 0
	v_lshl_add_u32 v12, v68, 4, 0
	v_mov_b32_e32 v69, v1
	v_add3_u32 v7, v7, v2, v0
	v_lshlrev_b64 v[6:7], 4, v[6:7]
	v_mov_b32_e32 v0, s11
	v_add_co_u32_e32 v8, vcc, s10, v6
	v_addc_co_u32_e32 v0, vcc, v0, v7, vcc
	v_lshlrev_b64 v[6:7], 4, v[64:65]
	ds_read_b128 v[2:5], v12
	v_add_co_u32_e32 v13, vcc, v8, v6
	v_addc_co_u32_e32 v14, vcc, v0, v7, vcc
	v_lshlrev_b64 v[6:7], 4, v[68:69]
	v_add_u32_e32 v0, 0xd0, v68
	v_add_co_u32_e32 v10, vcc, v13, v6
	v_addc_co_u32_e32 v11, vcc, v14, v7, vcc
	ds_read_b128 v[6:9], v12 offset:3328
	s_waitcnt lgkmcnt(1)
	global_store_dwordx4 v[10:11], v[2:5], off
	s_nop 0
	v_lshlrev_b64 v[2:3], 4, v[0:1]
	v_add_u32_e32 v0, 0x1a0, v68
	v_add_co_u32_e32 v2, vcc, v13, v2
	v_addc_co_u32_e32 v3, vcc, v14, v3, vcc
	s_waitcnt lgkmcnt(0)
	global_store_dwordx4 v[2:3], v[6:9], off
	ds_read_b128 v[2:5], v12 offset:6656
	v_lshlrev_b64 v[6:7], 4, v[0:1]
	v_add_u32_e32 v0, 0x270, v68
	v_add_co_u32_e32 v10, vcc, v13, v6
	v_addc_co_u32_e32 v11, vcc, v14, v7, vcc
	ds_read_b128 v[6:9], v12 offset:9984
	s_waitcnt lgkmcnt(1)
	global_store_dwordx4 v[10:11], v[2:5], off
	s_nop 0
	v_lshlrev_b64 v[2:3], 4, v[0:1]
	v_add_u32_e32 v0, 0x340, v68
	v_add_co_u32_e32 v2, vcc, v13, v2
	v_addc_co_u32_e32 v3, vcc, v14, v3, vcc
	s_waitcnt lgkmcnt(0)
	global_store_dwordx4 v[2:3], v[6:9], off
	ds_read_b128 v[2:5], v12 offset:13312
	v_lshlrev_b64 v[0:1], 4, v[0:1]
	v_add_co_u32_e32 v0, vcc, v13, v0
	v_addc_co_u32_e32 v1, vcc, v14, v1, vcc
	s_waitcnt lgkmcnt(0)
	global_store_dwordx4 v[0:1], v[2:5], off
.LBB0_29:
	s_endpgm
	.section	.rodata,"a",@progbits
	.p2align	6, 0x0
	.amdhsa_kernel fft_rtc_back_len1040_factors_13_16_5_wgs_208_tpt_208_halfLds_dp_op_CI_CI_unitstride_sbrr_C2R_dirReg
		.amdhsa_group_segment_fixed_size 0
		.amdhsa_private_segment_fixed_size 0
		.amdhsa_kernarg_size 104
		.amdhsa_user_sgpr_count 6
		.amdhsa_user_sgpr_private_segment_buffer 1
		.amdhsa_user_sgpr_dispatch_ptr 0
		.amdhsa_user_sgpr_queue_ptr 0
		.amdhsa_user_sgpr_kernarg_segment_ptr 1
		.amdhsa_user_sgpr_dispatch_id 0
		.amdhsa_user_sgpr_flat_scratch_init 0
		.amdhsa_user_sgpr_private_segment_size 0
		.amdhsa_uses_dynamic_stack 0
		.amdhsa_system_sgpr_private_segment_wavefront_offset 0
		.amdhsa_system_sgpr_workgroup_id_x 1
		.amdhsa_system_sgpr_workgroup_id_y 0
		.amdhsa_system_sgpr_workgroup_id_z 0
		.amdhsa_system_sgpr_workgroup_info 0
		.amdhsa_system_vgpr_workitem_id 0
		.amdhsa_next_free_vgpr 126
		.amdhsa_next_free_sgpr 46
		.amdhsa_reserve_vcc 1
		.amdhsa_reserve_flat_scratch 0
		.amdhsa_float_round_mode_32 0
		.amdhsa_float_round_mode_16_64 0
		.amdhsa_float_denorm_mode_32 3
		.amdhsa_float_denorm_mode_16_64 3
		.amdhsa_dx10_clamp 1
		.amdhsa_ieee_mode 1
		.amdhsa_fp16_overflow 0
		.amdhsa_exception_fp_ieee_invalid_op 0
		.amdhsa_exception_fp_denorm_src 0
		.amdhsa_exception_fp_ieee_div_zero 0
		.amdhsa_exception_fp_ieee_overflow 0
		.amdhsa_exception_fp_ieee_underflow 0
		.amdhsa_exception_fp_ieee_inexact 0
		.amdhsa_exception_int_div_zero 0
	.end_amdhsa_kernel
	.text
.Lfunc_end0:
	.size	fft_rtc_back_len1040_factors_13_16_5_wgs_208_tpt_208_halfLds_dp_op_CI_CI_unitstride_sbrr_C2R_dirReg, .Lfunc_end0-fft_rtc_back_len1040_factors_13_16_5_wgs_208_tpt_208_halfLds_dp_op_CI_CI_unitstride_sbrr_C2R_dirReg
                                        ; -- End function
	.section	.AMDGPU.csdata,"",@progbits
; Kernel info:
; codeLenInByte = 9388
; NumSgprs: 50
; NumVgprs: 126
; ScratchSize: 0
; MemoryBound: 0
; FloatMode: 240
; IeeeMode: 1
; LDSByteSize: 0 bytes/workgroup (compile time only)
; SGPRBlocks: 6
; VGPRBlocks: 31
; NumSGPRsForWavesPerEU: 50
; NumVGPRsForWavesPerEU: 126
; Occupancy: 2
; WaveLimiterHint : 1
; COMPUTE_PGM_RSRC2:SCRATCH_EN: 0
; COMPUTE_PGM_RSRC2:USER_SGPR: 6
; COMPUTE_PGM_RSRC2:TRAP_HANDLER: 0
; COMPUTE_PGM_RSRC2:TGID_X_EN: 1
; COMPUTE_PGM_RSRC2:TGID_Y_EN: 0
; COMPUTE_PGM_RSRC2:TGID_Z_EN: 0
; COMPUTE_PGM_RSRC2:TIDIG_COMP_CNT: 0
	.type	__hip_cuid_b1e16eb35eddb7e1,@object ; @__hip_cuid_b1e16eb35eddb7e1
	.section	.bss,"aw",@nobits
	.globl	__hip_cuid_b1e16eb35eddb7e1
__hip_cuid_b1e16eb35eddb7e1:
	.byte	0                               ; 0x0
	.size	__hip_cuid_b1e16eb35eddb7e1, 1

	.ident	"AMD clang version 19.0.0git (https://github.com/RadeonOpenCompute/llvm-project roc-6.4.0 25133 c7fe45cf4b819c5991fe208aaa96edf142730f1d)"
	.section	".note.GNU-stack","",@progbits
	.addrsig
	.addrsig_sym __hip_cuid_b1e16eb35eddb7e1
	.amdgpu_metadata
---
amdhsa.kernels:
  - .args:
      - .actual_access:  read_only
        .address_space:  global
        .offset:         0
        .size:           8
        .value_kind:     global_buffer
      - .offset:         8
        .size:           8
        .value_kind:     by_value
      - .actual_access:  read_only
        .address_space:  global
        .offset:         16
        .size:           8
        .value_kind:     global_buffer
      - .actual_access:  read_only
        .address_space:  global
        .offset:         24
        .size:           8
        .value_kind:     global_buffer
      - .actual_access:  read_only
        .address_space:  global
        .offset:         32
        .size:           8
        .value_kind:     global_buffer
      - .offset:         40
        .size:           8
        .value_kind:     by_value
      - .actual_access:  read_only
        .address_space:  global
        .offset:         48
        .size:           8
        .value_kind:     global_buffer
      - .actual_access:  read_only
        .address_space:  global
        .offset:         56
        .size:           8
        .value_kind:     global_buffer
      - .offset:         64
        .size:           4
        .value_kind:     by_value
      - .actual_access:  read_only
        .address_space:  global
        .offset:         72
        .size:           8
        .value_kind:     global_buffer
      - .actual_access:  read_only
        .address_space:  global
        .offset:         80
        .size:           8
        .value_kind:     global_buffer
      - .actual_access:  read_only
        .address_space:  global
        .offset:         88
        .size:           8
        .value_kind:     global_buffer
      - .actual_access:  write_only
        .address_space:  global
        .offset:         96
        .size:           8
        .value_kind:     global_buffer
    .group_segment_fixed_size: 0
    .kernarg_segment_align: 8
    .kernarg_segment_size: 104
    .language:       OpenCL C
    .language_version:
      - 2
      - 0
    .max_flat_workgroup_size: 208
    .name:           fft_rtc_back_len1040_factors_13_16_5_wgs_208_tpt_208_halfLds_dp_op_CI_CI_unitstride_sbrr_C2R_dirReg
    .private_segment_fixed_size: 0
    .sgpr_count:     50
    .sgpr_spill_count: 0
    .symbol:         fft_rtc_back_len1040_factors_13_16_5_wgs_208_tpt_208_halfLds_dp_op_CI_CI_unitstride_sbrr_C2R_dirReg.kd
    .uniform_work_group_size: 1
    .uses_dynamic_stack: false
    .vgpr_count:     126
    .vgpr_spill_count: 0
    .wavefront_size: 64
amdhsa.target:   amdgcn-amd-amdhsa--gfx906
amdhsa.version:
  - 1
  - 2
...

	.end_amdgpu_metadata
